;; amdgpu-corpus repo=ROCm/rocFFT kind=compiled arch=gfx1030 opt=O3
	.text
	.amdgcn_target "amdgcn-amd-amdhsa--gfx1030"
	.amdhsa_code_object_version 6
	.protected	fft_rtc_fwd_len400_factors_4_10_10_wgs_120_tpt_40_halfLds_dp_op_CI_CI_unitstride_sbrr_dirReg ; -- Begin function fft_rtc_fwd_len400_factors_4_10_10_wgs_120_tpt_40_halfLds_dp_op_CI_CI_unitstride_sbrr_dirReg
	.globl	fft_rtc_fwd_len400_factors_4_10_10_wgs_120_tpt_40_halfLds_dp_op_CI_CI_unitstride_sbrr_dirReg
	.p2align	8
	.type	fft_rtc_fwd_len400_factors_4_10_10_wgs_120_tpt_40_halfLds_dp_op_CI_CI_unitstride_sbrr_dirReg,@function
fft_rtc_fwd_len400_factors_4_10_10_wgs_120_tpt_40_halfLds_dp_op_CI_CI_unitstride_sbrr_dirReg: ; @fft_rtc_fwd_len400_factors_4_10_10_wgs_120_tpt_40_halfLds_dp_op_CI_CI_unitstride_sbrr_dirReg
; %bb.0:
	s_load_dwordx4 s[12:15], s[4:5], 0x0
	v_mul_u32_u24_e32 v1, 0x667, v0
	s_clause 0x1
	s_load_dwordx4 s[8:11], s[4:5], 0x58
	s_load_dwordx4 s[16:19], s[4:5], 0x18
	v_mov_b32_e32 v6, 0
	v_mov_b32_e32 v7, 0
	v_lshrrev_b32_e32 v2, 16, v1
	v_mov_b32_e32 v1, 0
	v_mov_b32_e32 v51, v7
	;; [unrolled: 1-line block ×3, first 2 shown]
	v_mad_u64_u32 v[4:5], null, s6, 3, v[2:3]
	v_mov_b32_e32 v5, v1
	v_mov_b32_e32 v53, v5
	;; [unrolled: 1-line block ×3, first 2 shown]
	s_waitcnt lgkmcnt(0)
	v_cmp_lt_u64_e64 s0, s[14:15], 2
	s_and_b32 vcc_lo, exec_lo, s0
	s_cbranch_vccnz .LBB0_8
; %bb.1:
	s_load_dwordx2 s[0:1], s[4:5], 0x10
	v_mov_b32_e32 v6, 0
	v_mov_b32_e32 v7, 0
	s_add_u32 s2, s18, 8
	v_mov_b32_e32 v9, v5
	s_addc_u32 s3, s19, 0
	v_mov_b32_e32 v8, v4
	v_mov_b32_e32 v51, v7
	s_add_u32 s6, s16, 8
	v_mov_b32_e32 v50, v6
	s_addc_u32 s7, s17, 0
	s_mov_b64 s[22:23], 1
	s_waitcnt lgkmcnt(0)
	s_add_u32 s20, s0, 8
	s_addc_u32 s21, s1, 0
.LBB0_2:                                ; =>This Inner Loop Header: Depth=1
	s_load_dwordx2 s[24:25], s[20:21], 0x0
                                        ; implicit-def: $vgpr52_vgpr53
	s_mov_b32 s0, exec_lo
	s_waitcnt lgkmcnt(0)
	v_or_b32_e32 v2, s25, v9
	v_cmpx_ne_u64_e32 0, v[1:2]
	s_xor_b32 s1, exec_lo, s0
	s_cbranch_execz .LBB0_4
; %bb.3:                                ;   in Loop: Header=BB0_2 Depth=1
	v_cvt_f32_u32_e32 v2, s24
	v_cvt_f32_u32_e32 v3, s25
	s_sub_u32 s0, 0, s24
	s_subb_u32 s26, 0, s25
	v_fmac_f32_e32 v2, 0x4f800000, v3
	v_rcp_f32_e32 v2, v2
	v_mul_f32_e32 v2, 0x5f7ffffc, v2
	v_mul_f32_e32 v3, 0x2f800000, v2
	v_trunc_f32_e32 v3, v3
	v_fmac_f32_e32 v2, 0xcf800000, v3
	v_cvt_u32_f32_e32 v3, v3
	v_cvt_u32_f32_e32 v2, v2
	v_mul_lo_u32 v5, s0, v3
	v_mul_hi_u32 v10, s0, v2
	v_mul_lo_u32 v11, s26, v2
	v_add_nc_u32_e32 v5, v10, v5
	v_mul_lo_u32 v10, s0, v2
	v_add_nc_u32_e32 v5, v5, v11
	v_mul_hi_u32 v11, v2, v10
	v_mul_lo_u32 v12, v2, v5
	v_mul_hi_u32 v13, v2, v5
	v_mul_hi_u32 v14, v3, v10
	v_mul_lo_u32 v10, v3, v10
	v_mul_hi_u32 v15, v3, v5
	v_mul_lo_u32 v5, v3, v5
	v_add_co_u32 v11, vcc_lo, v11, v12
	v_add_co_ci_u32_e32 v12, vcc_lo, 0, v13, vcc_lo
	v_add_co_u32 v10, vcc_lo, v11, v10
	v_add_co_ci_u32_e32 v10, vcc_lo, v12, v14, vcc_lo
	v_add_co_ci_u32_e32 v11, vcc_lo, 0, v15, vcc_lo
	v_add_co_u32 v5, vcc_lo, v10, v5
	v_add_co_ci_u32_e32 v10, vcc_lo, 0, v11, vcc_lo
	v_add_co_u32 v2, vcc_lo, v2, v5
	v_add_co_ci_u32_e32 v3, vcc_lo, v3, v10, vcc_lo
	v_mul_hi_u32 v5, s0, v2
	v_mul_lo_u32 v11, s26, v2
	v_mul_lo_u32 v10, s0, v3
	v_add_nc_u32_e32 v5, v5, v10
	v_mul_lo_u32 v10, s0, v2
	v_add_nc_u32_e32 v5, v5, v11
	v_mul_hi_u32 v11, v2, v10
	v_mul_lo_u32 v12, v2, v5
	v_mul_hi_u32 v13, v2, v5
	v_mul_hi_u32 v14, v3, v10
	v_mul_lo_u32 v10, v3, v10
	v_mul_hi_u32 v15, v3, v5
	v_mul_lo_u32 v5, v3, v5
	v_add_co_u32 v11, vcc_lo, v11, v12
	v_add_co_ci_u32_e32 v12, vcc_lo, 0, v13, vcc_lo
	v_add_co_u32 v10, vcc_lo, v11, v10
	v_add_co_ci_u32_e32 v10, vcc_lo, v12, v14, vcc_lo
	v_add_co_ci_u32_e32 v11, vcc_lo, 0, v15, vcc_lo
	v_add_co_u32 v5, vcc_lo, v10, v5
	v_add_co_ci_u32_e32 v10, vcc_lo, 0, v11, vcc_lo
	v_add_co_u32 v5, vcc_lo, v2, v5
	v_add_co_ci_u32_e32 v12, vcc_lo, v3, v10, vcc_lo
	v_mul_hi_u32 v14, v8, v5
	v_mad_u64_u32 v[10:11], null, v9, v5, 0
	v_mad_u64_u32 v[2:3], null, v8, v12, 0
	;; [unrolled: 1-line block ×3, first 2 shown]
	v_add_co_u32 v2, vcc_lo, v14, v2
	v_add_co_ci_u32_e32 v3, vcc_lo, 0, v3, vcc_lo
	v_add_co_u32 v2, vcc_lo, v2, v10
	v_add_co_ci_u32_e32 v2, vcc_lo, v3, v11, vcc_lo
	v_add_co_ci_u32_e32 v3, vcc_lo, 0, v13, vcc_lo
	v_add_co_u32 v5, vcc_lo, v2, v12
	v_add_co_ci_u32_e32 v10, vcc_lo, 0, v3, vcc_lo
	v_mul_lo_u32 v11, s25, v5
	v_mad_u64_u32 v[2:3], null, s24, v5, 0
	v_mul_lo_u32 v12, s24, v10
	v_sub_co_u32 v2, vcc_lo, v8, v2
	v_add3_u32 v3, v3, v12, v11
	v_sub_nc_u32_e32 v11, v9, v3
	v_subrev_co_ci_u32_e64 v11, s0, s25, v11, vcc_lo
	v_add_co_u32 v12, s0, v5, 2
	v_add_co_ci_u32_e64 v13, s0, 0, v10, s0
	v_sub_co_u32 v14, s0, v2, s24
	v_sub_co_ci_u32_e32 v3, vcc_lo, v9, v3, vcc_lo
	v_subrev_co_ci_u32_e64 v11, s0, 0, v11, s0
	v_cmp_le_u32_e32 vcc_lo, s24, v14
	v_cmp_eq_u32_e64 s0, s25, v3
	v_cndmask_b32_e64 v14, 0, -1, vcc_lo
	v_cmp_le_u32_e32 vcc_lo, s25, v11
	v_cndmask_b32_e64 v15, 0, -1, vcc_lo
	v_cmp_le_u32_e32 vcc_lo, s24, v2
	;; [unrolled: 2-line block ×3, first 2 shown]
	v_cndmask_b32_e64 v16, 0, -1, vcc_lo
	v_cmp_eq_u32_e32 vcc_lo, s25, v11
	v_cndmask_b32_e64 v2, v16, v2, s0
	v_cndmask_b32_e32 v11, v15, v14, vcc_lo
	v_add_co_u32 v14, vcc_lo, v5, 1
	v_add_co_ci_u32_e32 v15, vcc_lo, 0, v10, vcc_lo
	v_cmp_ne_u32_e32 vcc_lo, 0, v11
	v_cndmask_b32_e32 v3, v15, v13, vcc_lo
	v_cndmask_b32_e32 v11, v14, v12, vcc_lo
	v_cmp_ne_u32_e32 vcc_lo, 0, v2
	v_cndmask_b32_e32 v53, v10, v3, vcc_lo
	v_cndmask_b32_e32 v52, v5, v11, vcc_lo
.LBB0_4:                                ;   in Loop: Header=BB0_2 Depth=1
	s_andn2_saveexec_b32 s0, s1
	s_cbranch_execz .LBB0_6
; %bb.5:                                ;   in Loop: Header=BB0_2 Depth=1
	v_cvt_f32_u32_e32 v2, s24
	s_sub_i32 s1, 0, s24
	v_mov_b32_e32 v53, v1
	v_rcp_iflag_f32_e32 v2, v2
	v_mul_f32_e32 v2, 0x4f7ffffe, v2
	v_cvt_u32_f32_e32 v2, v2
	v_mul_lo_u32 v3, s1, v2
	v_mul_hi_u32 v3, v2, v3
	v_add_nc_u32_e32 v2, v2, v3
	v_mul_hi_u32 v2, v8, v2
	v_mul_lo_u32 v3, v2, s24
	v_add_nc_u32_e32 v5, 1, v2
	v_sub_nc_u32_e32 v3, v8, v3
	v_subrev_nc_u32_e32 v10, s24, v3
	v_cmp_le_u32_e32 vcc_lo, s24, v3
	v_cndmask_b32_e32 v3, v3, v10, vcc_lo
	v_cndmask_b32_e32 v2, v2, v5, vcc_lo
	v_cmp_le_u32_e32 vcc_lo, s24, v3
	v_add_nc_u32_e32 v5, 1, v2
	v_cndmask_b32_e32 v52, v2, v5, vcc_lo
.LBB0_6:                                ;   in Loop: Header=BB0_2 Depth=1
	s_or_b32 exec_lo, exec_lo, s0
	v_mul_lo_u32 v5, v53, s24
	v_mul_lo_u32 v10, v52, s25
	s_load_dwordx2 s[0:1], s[6:7], 0x0
	v_mad_u64_u32 v[2:3], null, v52, s24, 0
	s_load_dwordx2 s[24:25], s[2:3], 0x0
	s_add_u32 s22, s22, 1
	s_addc_u32 s23, s23, 0
	s_add_u32 s2, s2, 8
	s_addc_u32 s3, s3, 0
	s_add_u32 s6, s6, 8
	v_add3_u32 v3, v3, v10, v5
	v_sub_co_u32 v2, vcc_lo, v8, v2
	s_addc_u32 s7, s7, 0
	s_add_u32 s20, s20, 8
	v_sub_co_ci_u32_e32 v3, vcc_lo, v9, v3, vcc_lo
	s_addc_u32 s21, s21, 0
	s_waitcnt lgkmcnt(0)
	v_mul_lo_u32 v5, s0, v3
	v_mul_lo_u32 v8, s1, v2
	v_mad_u64_u32 v[6:7], null, s0, v2, v[6:7]
	v_mul_lo_u32 v3, s24, v3
	v_mul_lo_u32 v9, s25, v2
	v_mad_u64_u32 v[50:51], null, s24, v2, v[50:51]
	v_cmp_ge_u64_e64 s0, s[22:23], s[14:15]
	v_add3_u32 v7, v8, v7, v5
	v_add3_u32 v51, v9, v51, v3
	s_and_b32 vcc_lo, exec_lo, s0
	s_cbranch_vccnz .LBB0_8
; %bb.7:                                ;   in Loop: Header=BB0_2 Depth=1
	v_mov_b32_e32 v8, v52
	v_mov_b32_e32 v9, v53
	s_branch .LBB0_2
.LBB0_8:
	s_load_dwordx2 s[0:1], s[4:5], 0x28
	v_mul_hi_u32 v1, 0x6666667, v0
	s_lshl_b64 s[4:5], s[14:15], 3
                                        ; implicit-def: $sgpr6
                                        ; implicit-def: $vgpr55
	s_add_u32 s2, s18, s4
	s_addc_u32 s3, s19, s5
	s_waitcnt lgkmcnt(0)
	v_cmp_gt_u64_e32 vcc_lo, s[0:1], v[52:53]
	v_cmp_le_u64_e64 s0, s[0:1], v[52:53]
	s_and_saveexec_b32 s1, s0
	s_xor_b32 s0, exec_lo, s1
; %bb.9:
	v_mul_u32_u24_e32 v1, 40, v1
	s_mov_b32 s6, 0
                                        ; implicit-def: $vgpr6_vgpr7
	v_sub_nc_u32_e32 v55, v0, v1
                                        ; implicit-def: $vgpr1
                                        ; implicit-def: $vgpr0
; %bb.10:
	s_or_saveexec_b32 s1, s0
	s_load_dwordx2 s[2:3], s[2:3], 0x0
	v_mov_b32_e32 v54, s6
                                        ; implicit-def: $vgpr20_vgpr21
                                        ; implicit-def: $vgpr36_vgpr37
                                        ; implicit-def: $vgpr28_vgpr29
                                        ; implicit-def: $vgpr32_vgpr33
                                        ; implicit-def: $vgpr12_vgpr13
                                        ; implicit-def: $vgpr16_vgpr17
                                        ; implicit-def: $vgpr48_vgpr49
                                        ; implicit-def: $vgpr8_vgpr9
                                        ; implicit-def: $vgpr40_vgpr41
                                        ; implicit-def: $vgpr24_vgpr25
                                        ; implicit-def: $vgpr44_vgpr45
                                        ; implicit-def: $vgpr2_vgpr3
	s_xor_b32 exec_lo, exec_lo, s1
	s_cbranch_execz .LBB0_14
; %bb.11:
	s_add_u32 s4, s16, s4
	s_addc_u32 s5, s17, s5
                                        ; implicit-def: $vgpr46_vgpr47
                                        ; implicit-def: $vgpr14_vgpr15
                                        ; implicit-def: $vgpr10_vgpr11
	s_load_dwordx2 s[4:5], s[4:5], 0x0
	s_waitcnt lgkmcnt(0)
	v_mul_lo_u32 v5, s5, v52
	v_mul_lo_u32 v8, s4, v53
	v_mad_u64_u32 v[2:3], null, s4, v52, 0
	s_mov_b32 s4, exec_lo
	v_add3_u32 v3, v3, v8, v5
	v_mul_u32_u24_e32 v8, 40, v1
	v_lshlrev_b64 v[5:6], 4, v[6:7]
	v_lshlrev_b64 v[1:2], 4, v[2:3]
	v_sub_nc_u32_e32 v55, v0, v8
	v_add_co_u32 v0, s0, s8, v1
	v_add_co_ci_u32_e64 v1, s0, s9, v2, s0
	v_lshlrev_b32_e32 v2, 4, v55
	v_add_co_u32 v0, s0, v0, v5
	v_add_co_ci_u32_e64 v1, s0, v1, v6, s0
                                        ; implicit-def: $vgpr6_vgpr7
	v_add_co_u32 v8, s0, v0, v2
	v_add_co_ci_u32_e64 v9, s0, 0, v1, s0
	v_add_co_u32 v12, s0, 0x800, v8
	v_add_co_ci_u32_e64 v13, s0, 0, v9, s0
	;; [unrolled: 2-line block ×3, first 2 shown]
	s_clause 0x7
	global_load_dwordx4 v[0:3], v[8:9], off
	global_load_dwordx4 v[22:25], v[8:9], off offset:640
	global_load_dwordx4 v[18:21], v[8:9], off offset:1600
	;; [unrolled: 1-line block ×7, first 2 shown]
	v_cmpx_gt_u32_e32 20, v55
; %bb.12:
	s_clause 0x3
	global_load_dwordx4 v[6:9], v[8:9], off offset:1280
	global_load_dwordx4 v[10:13], v[12:13], off offset:832
	;; [unrolled: 1-line block ×4, first 2 shown]
; %bb.13:
	s_or_b32 exec_lo, exec_lo, s4
	v_mov_b32_e32 v54, v55
.LBB0_14:
	s_or_b32 exec_lo, exec_lo, s1
	s_waitcnt vmcnt(3)
	v_add_f64 v[64:65], v[0:1], -v[34:35]
	s_waitcnt vmcnt(1)
	v_add_f64 v[34:35], v[18:19], -v[42:43]
	v_add_f64 v[30:31], v[22:23], -v[30:31]
	s_waitcnt vmcnt(0)
	v_add_f64 v[38:39], v[26:27], -v[38:39]
	v_add_f64 v[40:41], v[28:29], -v[40:41]
	;; [unrolled: 1-line block ×3, first 2 shown]
	v_mul_hi_u32 v5, 0xaaaaaaab, v4
	v_cmp_gt_u32_e64 s0, 20, v55
	v_lshrrev_b32_e32 v5, 1, v5
	v_lshl_add_u32 v5, v5, 1, v5
	v_fma_f64 v[0:1], v[0:1], 2.0, -v[64:65]
	v_fma_f64 v[18:19], v[18:19], 2.0, -v[34:35]
	;; [unrolled: 1-line block ×4, first 2 shown]
	v_add_f64 v[62:63], v[30:31], -v[40:41]
	v_add_f64 v[58:59], v[64:65], -v[42:43]
	;; [unrolled: 1-line block ×4, first 2 shown]
	v_fma_f64 v[70:71], v[30:31], 2.0, -v[62:63]
	v_add_f64 v[26:27], v[10:11], -v[46:47]
	v_add_f64 v[30:31], v[12:13], -v[48:49]
	v_fma_f64 v[66:67], v[64:65], 2.0, -v[58:59]
	v_fma_f64 v[64:65], v[0:1], 2.0, -v[56:57]
	v_sub_nc_u32_e32 v1, v4, v5
	v_fma_f64 v[68:69], v[22:23], 2.0, -v[60:61]
	v_lshl_add_u32 v0, v55, 5, 0
	v_add_nc_u32_e32 v4, 0x50, v55
	v_mul_u32_u24_e32 v1, 0x190, v1
	v_lshlrev_b32_e32 v45, 5, v4
	v_lshl_add_u32 v47, v1, 3, v0
	v_lshlrev_b32_e32 v44, 3, v1
	ds_write_b128 v47, v[56:59] offset:16
	ds_write_b128 v47, v[64:67]
	ds_write_b128 v47, v[68:71] offset:1280
	ds_write_b128 v47, v[60:63] offset:1296
	v_add_nc_u32_e32 v46, 0x500, v47
	s_and_saveexec_b32 s1, s0
	s_cbranch_execz .LBB0_16
; %bb.15:
	v_add_f64 v[14:15], v[6:7], -v[14:15]
	v_fma_f64 v[4:5], v[10:11], 2.0, -v[26:27]
	v_add3_u32 v1, 0, v45, v44
	v_fma_f64 v[10:11], v[6:7], 2.0, -v[14:15]
	v_add_f64 v[6:7], v[14:15], -v[30:31]
	v_add_f64 v[4:5], v[10:11], -v[4:5]
	v_fma_f64 v[58:59], v[14:15], 2.0, -v[6:7]
	v_fma_f64 v[56:57], v[10:11], 2.0, -v[4:5]
	ds_write_b128 v1, v[56:59]
	ds_write_b128 v1, v[4:7] offset:16
.LBB0_16:
	s_or_b32 exec_lo, exec_lo, s1
	v_add_f64 v[4:5], v[2:3], -v[36:37]
	v_add_f64 v[6:7], v[24:25], -v[32:33]
	v_fma_f64 v[10:11], v[20:21], 2.0, -v[42:43]
	v_fma_f64 v[14:15], v[28:29], 2.0, -v[40:41]
	v_mul_i32_i24_e32 v1, 0xffffffe8, v55
	s_waitcnt lgkmcnt(0)
	s_barrier
	buffer_gl0_inv
	v_add3_u32 v28, v0, v1, v44
	v_add_nc_u32_e32 v32, 0x800, v28
	v_fma_f64 v[18:19], v[2:3], 2.0, -v[4:5]
	v_fma_f64 v[20:21], v[24:25], 2.0, -v[6:7]
	v_add_f64 v[35:36], v[34:35], v[4:5]
	v_add_f64 v[39:40], v[38:39], v[6:7]
	v_lshlrev_b32_e32 v2, 3, v55
	v_add3_u32 v29, 0, v44, v2
	ds_read2_b64 v[0:3], v28 offset0:40 offset1:80
	ds_read2_b64 v[22:25], v28 offset0:120 offset1:160
	v_add_f64 v[33:34], v[18:19], -v[10:11]
	v_add_f64 v[37:38], v[20:21], -v[14:15]
	v_fma_f64 v[58:59], v[4:5], 2.0, -v[35:36]
	v_fma_f64 v[62:63], v[6:7], 2.0, -v[39:40]
	;; [unrolled: 1-line block ×4, first 2 shown]
	ds_read2_b64 v[18:21], v28 offset0:200 offset1:240
	ds_read_b64 v[10:11], v29
	ds_read_b64 v[14:15], v28 offset:2880
	ds_read2_b64 v[4:7], v32 offset0:24 offset1:64
	s_waitcnt lgkmcnt(0)
	s_barrier
	buffer_gl0_inv
	ds_write_b128 v47, v[33:36] offset:16
	ds_write_b128 v47, v[56:59]
	ds_write_b128 v46, v[60:63]
	ds_write_b128 v46, v[37:40] offset:16
	s_and_saveexec_b32 s1, s0
	s_cbranch_execz .LBB0_18
; %bb.17:
	v_add_f64 v[16:17], v[8:9], -v[16:17]
	v_fma_f64 v[12:13], v[12:13], 2.0, -v[30:31]
	v_fma_f64 v[8:9], v[8:9], 2.0, -v[16:17]
	v_add_f64 v[35:36], v[26:27], v[16:17]
	v_add_f64 v[33:34], v[8:9], -v[12:13]
	v_fma_f64 v[39:40], v[16:17], 2.0, -v[35:36]
	v_fma_f64 v[37:38], v[8:9], 2.0, -v[33:34]
	v_add3_u32 v8, 0, v45, v44
	ds_write_b128 v8, v[37:40]
	ds_write_b128 v8, v[33:36] offset:16
.LBB0_18:
	s_or_b32 exec_lo, exec_lo, s1
	v_and_b32_e32 v8, 3, v55
	s_waitcnt lgkmcnt(0)
	s_barrier
	buffer_gl0_inv
	s_mov_b32 s0, 0x134454ff
	v_mul_u32_u24_e32 v9, 9, v8
	s_mov_b32 s1, 0x3fee6f0e
	s_mov_b32 s5, 0xbfee6f0e
	;; [unrolled: 1-line block ×4, first 2 shown]
	v_lshlrev_b32_e32 v9, 4, v9
	s_mov_b32 s7, 0x3fe2cf23
	s_mov_b32 s9, 0xbfe2cf23
	;; [unrolled: 1-line block ×4, first 2 shown]
	s_clause 0x8
	global_load_dwordx4 v[33:36], v9, s[12:13] offset:32
	global_load_dwordx4 v[37:40], v9, s[12:13] offset:48
	;; [unrolled: 1-line block ×8, first 2 shown]
	global_load_dwordx4 v[76:79], v9, s[12:13]
	ds_read2_b64 v[80:83], v28 offset0:120 offset1:160
	ds_read2_b64 v[84:87], v28 offset0:200 offset1:240
	s_mov_b32 s15, 0x3fd3c6ef
	s_mov_b32 s16, 0x9b97f4a8
	;; [unrolled: 1-line block ×3, first 2 shown]
	s_waitcnt vmcnt(8) lgkmcnt(1)
	v_mul_f64 v[12:13], v[80:81], v[35:36]
	v_mul_f64 v[16:17], v[22:23], v[35:36]
	s_waitcnt vmcnt(7)
	v_mul_f64 v[26:27], v[82:83], v[39:40]
	s_waitcnt vmcnt(6)
	;; [unrolled: 2-line block ×3, first 2 shown]
	v_mul_f64 v[41:42], v[20:21], v[58:59]
	v_fma_f64 v[12:13], v[22:23], v[33:34], -v[12:13]
	v_fma_f64 v[30:31], v[80:81], v[33:34], v[16:17]
	v_mul_f64 v[16:17], v[24:25], v[39:40]
	s_waitcnt lgkmcnt(0)
	v_mul_f64 v[33:34], v[84:85], v[47:48]
	v_mul_f64 v[39:40], v[86:87], v[58:59]
	v_fma_f64 v[26:27], v[24:25], v[37:38], -v[26:27]
	ds_read2_b64 v[22:25], v28 offset0:40 offset1:80
	v_fma_f64 v[35:36], v[84:85], v[45:46], v[35:36]
	v_fma_f64 v[41:42], v[86:87], v[56:57], v[41:42]
	;; [unrolled: 1-line block ×3, first 2 shown]
	v_fma_f64 v[33:34], v[18:19], v[45:46], -v[33:34]
	ds_read2_b64 v[16:19], v32 offset0:24 offset1:64
	s_waitcnt vmcnt(4) lgkmcnt(1)
	v_mul_f64 v[45:46], v[24:25], v[62:63]
	v_fma_f64 v[20:21], v[20:21], v[56:57], -v[39:40]
	v_mul_f64 v[39:40], v[2:3], v[62:63]
	s_waitcnt vmcnt(3)
	v_mul_f64 v[56:57], v[6:7], v[66:67]
	ds_read_b64 v[58:59], v28 offset:2880
	ds_read_b64 v[62:63], v29
	v_add_f64 v[80:81], v[30:31], -v[35:36]
	s_waitcnt vmcnt(0) lgkmcnt(0)
	s_barrier
	buffer_gl0_inv
	v_mul_f64 v[47:48], v[18:19], v[66:67]
	v_mul_f64 v[66:67], v[16:17], v[70:71]
	v_fma_f64 v[2:3], v[2:3], v[60:61], -v[45:46]
	v_mul_f64 v[45:46], v[58:59], v[74:75]
	v_fma_f64 v[24:25], v[24:25], v[60:61], v[39:40]
	v_mul_f64 v[39:40], v[4:5], v[70:71]
	v_fma_f64 v[18:19], v[18:19], v[64:65], v[56:57]
	v_mul_f64 v[56:57], v[22:23], v[78:79]
	v_mul_f64 v[60:61], v[0:1], v[78:79]
	v_fma_f64 v[6:7], v[6:7], v[64:65], -v[47:48]
	v_mul_f64 v[47:48], v[14:15], v[74:75]
	v_fma_f64 v[4:5], v[4:5], v[68:69], -v[66:67]
	v_add_f64 v[74:75], v[10:11], v[2:3]
	v_fma_f64 v[14:15], v[14:15], v[72:73], -v[45:46]
	v_add_f64 v[45:46], v[2:3], -v[26:27]
	v_fma_f64 v[16:17], v[16:17], v[68:69], v[39:40]
	v_add_f64 v[66:67], v[24:25], -v[37:38]
	v_add_f64 v[68:69], v[18:19], -v[41:42]
	;; [unrolled: 1-line block ×3, first 2 shown]
	v_fma_f64 v[0:1], v[0:1], v[76:77], -v[56:57]
	v_fma_f64 v[22:23], v[22:23], v[76:77], v[60:61]
	v_add_f64 v[56:57], v[12:13], -v[33:34]
	v_add_f64 v[76:77], v[33:34], -v[12:13]
	;; [unrolled: 1-line block ×3, first 2 shown]
	v_fma_f64 v[39:40], v[58:59], v[72:73], v[47:48]
	v_add_f64 v[47:48], v[6:7], -v[20:21]
	v_add_f64 v[58:59], v[26:27], -v[2:3]
	;; [unrolled: 1-line block ×5, first 2 shown]
	v_add_f64 v[74:75], v[74:75], v[26:27]
	v_add_f64 v[66:67], v[66:67], v[68:69]
	v_add_f64 v[68:69], v[26:27], v[20:21]
	v_add_f64 v[26:27], v[26:27], -v[20:21]
	v_add_f64 v[82:83], v[39:40], -v[16:17]
	v_add_f64 v[45:46], v[45:46], v[47:48]
	v_add_f64 v[47:48], v[35:36], -v[30:31]
	v_add_f64 v[58:59], v[58:59], v[64:65]
	v_add_f64 v[64:65], v[16:17], -v[39:40]
	v_add_f64 v[70:71], v[70:71], v[72:73]
	v_add_f64 v[72:73], v[2:3], v[6:7]
	v_add_f64 v[56:57], v[56:57], v[60:61]
	;; [unrolled: 1-line block ×5, first 2 shown]
	v_fma_f64 v[68:69], v[68:69], -0.5, v[10:11]
	v_add_f64 v[20:21], v[74:75], v[20:21]
	v_add_f64 v[74:75], v[30:31], v[39:40]
	v_add_f64 v[2:3], v[2:3], -v[6:7]
	v_add_f64 v[80:81], v[80:81], v[82:83]
	v_add_f64 v[82:83], v[33:34], v[4:5]
	;; [unrolled: 1-line block ×4, first 2 shown]
	v_fma_f64 v[9:10], v[72:73], -0.5, v[10:11]
	v_add_f64 v[72:73], v[35:36], v[16:17]
	v_fma_f64 v[60:61], v[60:61], -0.5, v[62:63]
	v_fma_f64 v[78:79], v[78:79], -0.5, v[62:63]
	v_add_f64 v[62:63], v[62:63], v[24:25]
	v_add_f64 v[24:25], v[24:25], -v[18:19]
	v_fma_f64 v[74:75], v[74:75], -0.5, v[22:23]
	v_add_f64 v[6:7], v[20:21], v[6:7]
	v_fma_f64 v[82:83], v[82:83], -0.5, v[0:1]
	v_fma_f64 v[64:65], v[64:65], -0.5, v[0:1]
	v_add_f64 v[0:1], v[0:1], v[12:13]
	v_fma_f64 v[72:73], v[72:73], -0.5, v[22:23]
	v_add_f64 v[22:23], v[22:23], v[30:31]
	v_add_f64 v[30:31], v[30:31], -v[39:40]
	v_add_f64 v[11:12], v[12:13], -v[14:15]
	v_add_f64 v[62:63], v[62:63], v[37:38]
	v_add_f64 v[37:38], v[37:38], -v[41:42]
	v_lshrrev_b32_e32 v13, 2, v55
	v_mul_u32_u24_e32 v43, 40, v13
	v_or_b32_e32 v43, v43, v8
	v_add_f64 v[0:1], v[0:1], v[33:34]
	v_add_f64 v[33:34], v[33:34], -v[4:5]
	v_add_f64 v[22:23], v[22:23], v[35:36]
	v_add_f64 v[35:36], v[35:36], -v[16:17]
	v_add_f64 v[41:42], v[62:63], v[41:42]
	v_fma_f64 v[62:63], v[30:31], s[0:1], v[82:83]
	v_fma_f64 v[82:83], v[30:31], s[4:5], v[82:83]
	v_add_f64 v[0:1], v[0:1], v[4:5]
	v_add_f64 v[16:17], v[22:23], v[16:17]
	v_fma_f64 v[4:5], v[35:36], s[4:5], v[64:65]
	v_fma_f64 v[64:65], v[35:36], s[0:1], v[64:65]
	;; [unrolled: 1-line block ×8, first 2 shown]
	v_add_f64 v[18:19], v[41:42], v[18:19]
	v_add_f64 v[0:1], v[0:1], v[14:15]
	;; [unrolled: 1-line block ×3, first 2 shown]
	v_fma_f64 v[4:5], v[30:31], s[6:7], v[4:5]
	v_fma_f64 v[30:31], v[30:31], s[8:9], v[64:65]
	;; [unrolled: 1-line block ×14, first 2 shown]
	v_add_f64 v[39:40], v[6:7], v[0:1]
	v_add_f64 v[0:1], v[6:7], -v[0:1]
	v_fma_f64 v[4:5], v[76:77], s[14:15], v[4:5]
	v_fma_f64 v[30:31], v[76:77], s[14:15], v[30:31]
	;; [unrolled: 1-line block ×12, first 2 shown]
	v_mul_f64 v[62:63], v[56:57], s[8:9]
	v_fma_f64 v[20:21], v[66:67], s[14:15], v[20:21]
	v_fma_f64 v[22:23], v[66:67], s[14:15], v[22:23]
	v_mul_f64 v[76:77], v[30:31], s[14:15]
	v_fma_f64 v[64:65], v[47:48], s[14:15], v[64:65]
	v_fma_f64 v[11:12], v[47:48], s[14:15], v[11:12]
	;; [unrolled: 1-line block ×3, first 2 shown]
	v_mul_f64 v[24:25], v[82:83], s[6:7]
	v_fma_f64 v[37:38], v[37:38], s[8:9], v[68:69]
	v_mul_f64 v[68:69], v[35:36], s[16:17]
	v_fma_f64 v[60:61], v[58:59], s[14:15], v[72:73]
	;; [unrolled: 2-line block ×4, first 2 shown]
	v_fma_f64 v[41:42], v[82:83], s[16:17], v[62:63]
	v_fma_f64 v[26:27], v[70:71], s[14:15], v[26:27]
	v_mul_f64 v[47:48], v[64:65], s[0:1]
	v_fma_f64 v[13:14], v[45:46], s[14:15], v[74:75]
	v_mul_f64 v[74:75], v[11:12], s[14:15]
	v_fma_f64 v[24:25], v[56:57], s[16:17], v[24:25]
	v_fma_f64 v[11:12], v[11:12], s[0:1], -v[76:77]
	v_fma_f64 v[37:38], v[45:46], s[14:15], v[37:38]
	v_fma_f64 v[33:34], v[33:34], s[6:7], -v[68:69]
	;; [unrolled: 2-line block ×4, first 2 shown]
	v_add_f64 v[6:7], v[13:14], v[24:25]
	v_add_f64 v[56:57], v[9:10], v[11:12]
	v_add_f64 v[13:14], v[13:14], -v[24:25]
	v_add_f64 v[24:25], v[37:38], v[33:34]
	v_add_f64 v[8:9], v[9:10], -v[11:12]
	v_add_f64 v[10:11], v[37:38], -v[33:34]
	v_lshlrev_b32_e32 v12, 3, v43
	v_add_f64 v[33:34], v[18:19], v[15:16]
	v_add_f64 v[37:38], v[18:19], -v[15:16]
	v_add_f64 v[58:59], v[26:27], v[45:46]
	v_add_f64 v[62:63], v[22:23], v[35:36]
	v_add3_u32 v49, 0, v12, v44
	v_add_f64 v[43:44], v[20:21], v[41:42]
	v_add_f64 v[20:21], v[20:21], -v[41:42]
	v_add_f64 v[26:27], v[26:27], -v[45:46]
	;; [unrolled: 1-line block ×3, first 2 shown]
	v_add_f64 v[47:48], v[60:61], v[4:5]
	v_add_f64 v[4:5], v[60:61], -v[4:5]
	ds_write2_b64 v49, v[39:40], v[6:7] offset1:4
	ds_write2_b64 v49, v[47:48], v[56:57] offset0:8 offset1:12
	ds_write2_b64 v49, v[24:25], v[0:1] offset0:16 offset1:20
	;; [unrolled: 1-line block ×4, first 2 shown]
	v_add_f64 v[60:61], v[2:3], v[30:31]
	v_add_f64 v[30:31], v[2:3], -v[30:31]
	s_waitcnt lgkmcnt(0)
	s_barrier
	buffer_gl0_inv
	ds_read2_b64 v[0:3], v28 offset0:40 offset1:80
	ds_read2_b64 v[8:11], v28 offset0:120 offset1:160
	;; [unrolled: 1-line block ×4, first 2 shown]
	ds_read_b64 v[16:17], v29
	ds_read_b64 v[18:19], v28 offset:2880
	s_waitcnt lgkmcnt(0)
	s_barrier
	buffer_gl0_inv
	ds_write2_b64 v49, v[33:34], v[43:44] offset1:4
	ds_write2_b64 v49, v[58:59], v[60:61] offset0:8 offset1:12
	ds_write2_b64 v49, v[62:63], v[37:38] offset0:16 offset1:20
	;; [unrolled: 1-line block ×4, first 2 shown]
	s_waitcnt lgkmcnt(0)
	s_barrier
	buffer_gl0_inv
	s_and_saveexec_b32 s18, vcc_lo
	s_cbranch_execz .LBB0_20
; %bb.19:
	v_mul_u32_u24_e32 v20, 9, v55
	v_lshlrev_b64 v[50:51], 4, v[50:51]
	v_lshlrev_b32_e32 v55, 4, v20
	s_clause 0x8
	global_load_dwordx4 v[20:23], v55, s[12:13] offset:704
	global_load_dwordx4 v[24:27], v55, s[12:13] offset:608
	;; [unrolled: 1-line block ×9, first 2 shown]
	ds_read_b64 v[76:77], v28 offset:2880
	ds_read2_b64 v[64:67], v28 offset0:120 offset1:160
	v_add_nc_u32_e32 v55, 0x800, v28
	ds_read2_b64 v[68:71], v28 offset0:200 offset1:240
	ds_read_b64 v[78:79], v29
	ds_read2_b64 v[72:75], v55 offset0:24 offset1:64
	v_mov_b32_e32 v55, 0
	s_waitcnt vmcnt(8) lgkmcnt(4)
	v_mul_f64 v[80:81], v[76:77], v[22:23]
	v_mul_f64 v[22:23], v[18:19], v[22:23]
	s_waitcnt vmcnt(7) lgkmcnt(3)
	v_mul_f64 v[82:83], v[64:65], v[26:27]
	v_mul_f64 v[26:27], v[8:9], v[26:27]
	;; [unrolled: 3-line block ×4, first 2 shown]
	v_fma_f64 v[80:81], v[18:19], v[20:21], -v[80:81]
	v_fma_f64 v[22:23], v[20:21], v[76:77], v[22:23]
	ds_read2_b64 v[18:21], v28 offset0:40 offset1:80
	s_waitcnt vmcnt(4)
	v_mul_f64 v[28:29], v[10:11], v[40:41]
	v_fma_f64 v[8:9], v[8:9], v[24:25], -v[82:83]
	v_fma_f64 v[24:25], v[24:25], v[64:65], v[26:27]
	s_waitcnt vmcnt(3)
	v_mul_f64 v[26:27], v[14:15], v[44:45]
	s_waitcnt vmcnt(2)
	v_mul_f64 v[64:65], v[2:3], v[48:49]
	v_fma_f64 v[12:13], v[12:13], v[30:31], -v[84:85]
	v_fma_f64 v[30:31], v[30:31], v[68:69], v[32:33]
	s_waitcnt vmcnt(0)
	v_mul_f64 v[68:69], v[0:1], v[62:63]
	v_fma_f64 v[4:5], v[4:5], v[34:35], -v[86:87]
	v_fma_f64 v[34:35], v[34:35], v[72:73], v[36:37]
	v_mul_f64 v[32:33], v[6:7], v[58:59]
	v_mul_f64 v[40:41], v[66:67], v[40:41]
	;; [unrolled: 1-line block ×4, first 2 shown]
	v_mul_lo_u32 v72, s3, v52
	v_mul_lo_u32 v73, s2, v53
	v_mad_u64_u32 v[52:53], null, s2, v52, 0
	s_waitcnt lgkmcnt(0)
	v_mul_f64 v[36:37], v[18:19], v[62:63]
	v_mul_f64 v[48:49], v[20:21], v[48:49]
	v_fma_f64 v[28:29], v[66:67], v[38:39], v[28:29]
	v_add_f64 v[62:63], v[24:25], v[22:23]
	v_fma_f64 v[26:27], v[70:71], v[42:43], v[26:27]
	v_fma_f64 v[20:21], v[20:21], v[46:47], v[64:65]
	v_add_f64 v[70:71], v[24:25], -v[22:23]
	v_add3_u32 v53, v53, v73, v72
	v_fma_f64 v[18:19], v[60:61], v[18:19], v[68:69]
	v_add_f64 v[64:65], v[12:13], v[4:5]
	v_add_f64 v[68:69], v[8:9], -v[80:81]
	v_fma_f64 v[32:33], v[74:75], v[56:57], v[32:33]
	v_fma_f64 v[10:11], v[10:11], v[38:39], -v[40:41]
	v_fma_f64 v[14:15], v[14:15], v[42:43], -v[44:45]
	;; [unrolled: 1-line block ×3, first 2 shown]
	v_add_f64 v[42:43], v[8:9], -v[12:13]
	v_add_f64 v[44:45], v[12:13], -v[4:5]
	v_add_f64 v[56:57], v[24:25], -v[30:31]
	v_add_f64 v[58:59], v[30:31], -v[34:35]
	v_add_f64 v[76:77], v[12:13], -v[8:9]
	v_fma_f64 v[0:1], v[0:1], v[60:61], -v[36:37]
	v_add_f64 v[60:61], v[30:31], v[34:35]
	v_add_f64 v[36:37], v[8:9], v[80:81]
	v_fma_f64 v[2:3], v[2:3], v[46:47], -v[48:49]
	v_add_f64 v[48:49], v[80:81], -v[4:5]
	v_add_f64 v[82:83], v[4:5], -v[80:81]
	v_add_f64 v[66:67], v[28:29], v[26:27]
	v_add_f64 v[38:39], v[20:21], -v[28:29]
	v_add_f64 v[84:85], v[30:31], -v[24:25]
	;; [unrolled: 1-line block ×3, first 2 shown]
	v_fma_f64 v[46:47], v[62:63], -0.5, v[18:19]
	v_add_f64 v[62:63], v[22:23], -v[34:35]
	v_add_f64 v[74:75], v[28:29], -v[20:21]
	;; [unrolled: 1-line block ×3, first 2 shown]
	v_add_f64 v[72:73], v[20:21], v[32:33]
	v_add_f64 v[90:91], v[26:27], -v[32:33]
	v_lshlrev_b64 v[52:53], 4, v[52:53]
	v_fma_f64 v[64:65], v[64:65], -0.5, v[0:1]
	v_fma_f64 v[60:61], v[60:61], -0.5, v[18:19]
	;; [unrolled: 1-line block ×3, first 2 shown]
	v_add_f64 v[18:19], v[24:25], v[18:19]
	v_add_f64 v[24:25], v[10:11], v[14:15]
	;; [unrolled: 1-line block ×7, first 2 shown]
	v_fma_f64 v[8:9], v[44:45], s[4:5], v[46:47]
	v_fma_f64 v[46:47], v[44:45], s[0:1], v[46:47]
	v_add_f64 v[48:49], v[56:57], v[62:63]
	v_fma_f64 v[62:63], v[66:67], -0.5, v[78:79]
	v_add_f64 v[38:39], v[38:39], v[40:41]
	v_fma_f64 v[72:73], v[72:73], -0.5, v[78:79]
	v_add_f64 v[78:79], v[20:21], v[78:79]
	v_add_f64 v[84:85], v[84:85], v[86:87]
	v_add_f64 v[86:87], v[2:3], -v[6:7]
	v_add_f64 v[20:21], v[20:21], -v[32:33]
	v_add_f64 v[74:75], v[74:75], v[90:91]
	v_add_f64 v[90:91], v[14:15], -v[6:7]
	v_fma_f64 v[66:67], v[70:71], s[4:5], v[64:65]
	v_fma_f64 v[56:57], v[68:69], s[0:1], v[60:61]
	;; [unrolled: 1-line block ×6, first 2 shown]
	v_fma_f64 v[24:25], v[24:25], -0.5, v[16:17]
	v_fma_f64 v[16:17], v[88:89], -0.5, v[16:17]
	v_add_f64 v[88:89], v[10:11], -v[14:15]
	v_add_f64 v[18:19], v[30:31], v[18:19]
	v_fma_f64 v[8:9], v[68:69], s[6:7], v[8:9]
	v_fma_f64 v[46:47], v[68:69], s[8:9], v[46:47]
	v_add_f64 v[68:69], v[28:29], -v[26:27]
	v_add_f64 v[0:1], v[12:13], v[0:1]
	v_add_f64 v[28:29], v[28:29], v[78:79]
	v_fma_f64 v[12:13], v[86:87], s[0:1], v[62:63]
	v_fma_f64 v[62:63], v[86:87], s[4:5], v[62:63]
	v_fma_f64 v[66:67], v[58:59], s[8:9], v[66:67]
	v_fma_f64 v[56:57], v[44:45], s[6:7], v[56:57]
	v_fma_f64 v[58:59], v[58:59], s[6:7], v[64:65]
	v_fma_f64 v[44:45], v[44:45], s[8:9], v[60:61]
	v_fma_f64 v[40:41], v[70:71], s[8:9], v[40:41]
	v_fma_f64 v[36:37], v[70:71], s[6:7], v[36:37]
	v_add_f64 v[64:65], v[2:3], -v[10:11]
	v_add_f64 v[2:3], v[10:11], -v[2:3]
	v_add_f64 v[10:11], v[82:83], v[10:11]
	v_add_f64 v[60:61], v[6:7], -v[14:15]
	v_fma_f64 v[78:79], v[20:21], s[4:5], v[24:25]
	v_fma_f64 v[24:25], v[20:21], s[0:1], v[24:25]
	;; [unrolled: 1-line block ×8, first 2 shown]
	v_add_f64 v[26:27], v[26:27], v[28:29]
	v_add_f64 v[18:19], v[34:35], v[18:19]
	;; [unrolled: 1-line block ×3, first 2 shown]
	v_fma_f64 v[4:5], v[88:89], s[6:7], v[12:13]
	v_fma_f64 v[28:29], v[88:89], s[8:9], v[62:63]
	;; [unrolled: 1-line block ×8, first 2 shown]
	v_add_f64 v[2:3], v[2:3], v[90:91]
	v_add_f64 v[10:11], v[10:11], v[14:15]
	;; [unrolled: 1-line block ×3, first 2 shown]
	v_lshlrev_b64 v[70:71], 4, v[54:55]
	v_or_b32_e32 v54, 0x140, v54
	v_fma_f64 v[34:35], v[20:21], s[8:9], v[82:83]
	v_fma_f64 v[16:17], v[20:21], s[6:7], v[16:17]
	;; [unrolled: 1-line block ×4, first 2 shown]
	v_mul_f64 v[72:73], v[46:47], s[0:1]
	v_fma_f64 v[12:13], v[86:87], s[6:7], v[30:31]
	v_fma_f64 v[30:31], v[68:69], s[8:9], v[78:79]
	v_mul_f64 v[60:61], v[8:9], s[14:15]
	v_add_f64 v[26:27], v[32:33], v[26:27]
	v_add_f64 v[18:19], v[22:23], v[18:19]
	;; [unrolled: 1-line block ×3, first 2 shown]
	v_mul_f64 v[24:25], v[56:57], s[16:17]
	v_mul_f64 v[64:65], v[58:59], s[8:9]
	v_mul_f64 v[76:77], v[44:45], s[6:7]
	v_mul_f64 v[68:69], v[40:41], s[14:15]
	v_mul_f64 v[62:63], v[36:37], s[4:5]
	v_mul_f64 v[66:67], v[42:43], s[16:17]
	v_add_co_u32 v82, vcc_lo, s10, v52
	v_add_f64 v[10:11], v[6:7], v[10:11]
	v_fma_f64 v[32:33], v[38:39], s[14:15], v[4:5]
	v_fma_f64 v[28:29], v[38:39], s[14:15], v[28:29]
	v_add_co_ci_u32_e32 v83, vcc_lo, s11, v53, vcc_lo
	v_fma_f64 v[20:21], v[48:49], s[14:15], v[20:21]
	v_fma_f64 v[52:53], v[74:75], s[14:15], v[14:15]
	;; [unrolled: 1-line block ×6, first 2 shown]
	v_fma_f64 v[30:31], v[40:41], s[4:5], -v[60:61]
	v_add_f64 v[6:7], v[26:27], v[18:19]
	v_add_f64 v[2:3], v[26:27], -v[18:19]
	v_fma_f64 v[24:25], v[42:43], s[8:9], -v[24:25]
	v_fma_f64 v[38:39], v[44:45], s[16:17], v[64:65]
	v_fma_f64 v[44:45], v[58:59], s[16:17], v[76:77]
	;; [unrolled: 1-line block ×4, first 2 shown]
	v_fma_f64 v[8:9], v[8:9], s[0:1], -v[68:69]
	v_fma_f64 v[40:41], v[56:57], s[6:7], -v[66:67]
	v_add_co_u32 v50, vcc_lo, v82, v50
	v_add_f64 v[4:5], v[10:11], v[22:23]
	v_add_f64 v[0:1], v[10:11], -v[22:23]
	v_add_co_ci_u32_e32 v51, vcc_lo, v83, v51, vcc_lo
	v_lshlrev_b64 v[46:47], 4, v[54:55]
	v_add_co_u32 v48, vcc_lo, v50, v70
	v_add_co_ci_u32_e32 v49, vcc_lo, v51, v71, vcc_lo
	v_add_f64 v[14:15], v[12:13], -v[30:31]
	v_add_f64 v[30:31], v[12:13], v[30:31]
	v_add_f64 v[10:11], v[32:33], -v[24:25]
	v_add_f64 v[22:23], v[28:29], -v[38:39]
	v_add_f64 v[38:39], v[28:29], v[38:39]
	v_add_f64 v[36:37], v[20:21], v[44:45]
	v_add_f64 v[18:19], v[52:53], -v[34:35]
	v_add_f64 v[26:27], v[32:33], v[24:25]
	v_add_f64 v[34:35], v[52:53], v[34:35]
	;; [unrolled: 1-line block ×5, first 2 shown]
	v_add_f64 v[20:21], v[20:21], -v[44:45]
	v_add_f64 v[16:17], v[16:17], -v[42:43]
	;; [unrolled: 1-line block ×4, first 2 shown]
	v_add_co_u32 v40, vcc_lo, v50, v46
	v_add_co_ci_u32_e32 v41, vcc_lo, v51, v47, vcc_lo
	v_add_co_u32 v42, vcc_lo, 0x800, v48
	v_add_co_ci_u32_e32 v43, vcc_lo, 0, v49, vcc_lo
	;; [unrolled: 2-line block ×3, first 2 shown]
	global_store_dwordx4 v[48:49], v[4:7], off
	global_store_dwordx4 v[42:43], v[0:3], off offset:1152
	global_store_dwordx4 v[48:49], v[36:39], off offset:640
	;; [unrolled: 1-line block ×7, first 2 shown]
	global_store_dwordx4 v[40:41], v[12:15], off
	global_store_dwordx4 v[44:45], v[8:11], off offset:1664
.LBB0_20:
	s_endpgm
	.section	.rodata,"a",@progbits
	.p2align	6, 0x0
	.amdhsa_kernel fft_rtc_fwd_len400_factors_4_10_10_wgs_120_tpt_40_halfLds_dp_op_CI_CI_unitstride_sbrr_dirReg
		.amdhsa_group_segment_fixed_size 0
		.amdhsa_private_segment_fixed_size 0
		.amdhsa_kernarg_size 104
		.amdhsa_user_sgpr_count 6
		.amdhsa_user_sgpr_private_segment_buffer 1
		.amdhsa_user_sgpr_dispatch_ptr 0
		.amdhsa_user_sgpr_queue_ptr 0
		.amdhsa_user_sgpr_kernarg_segment_ptr 1
		.amdhsa_user_sgpr_dispatch_id 0
		.amdhsa_user_sgpr_flat_scratch_init 0
		.amdhsa_user_sgpr_private_segment_size 0
		.amdhsa_wavefront_size32 1
		.amdhsa_uses_dynamic_stack 0
		.amdhsa_system_sgpr_private_segment_wavefront_offset 0
		.amdhsa_system_sgpr_workgroup_id_x 1
		.amdhsa_system_sgpr_workgroup_id_y 0
		.amdhsa_system_sgpr_workgroup_id_z 0
		.amdhsa_system_sgpr_workgroup_info 0
		.amdhsa_system_vgpr_workitem_id 0
		.amdhsa_next_free_vgpr 92
		.amdhsa_next_free_sgpr 27
		.amdhsa_reserve_vcc 1
		.amdhsa_reserve_flat_scratch 0
		.amdhsa_float_round_mode_32 0
		.amdhsa_float_round_mode_16_64 0
		.amdhsa_float_denorm_mode_32 3
		.amdhsa_float_denorm_mode_16_64 3
		.amdhsa_dx10_clamp 1
		.amdhsa_ieee_mode 1
		.amdhsa_fp16_overflow 0
		.amdhsa_workgroup_processor_mode 1
		.amdhsa_memory_ordered 1
		.amdhsa_forward_progress 0
		.amdhsa_shared_vgpr_count 0
		.amdhsa_exception_fp_ieee_invalid_op 0
		.amdhsa_exception_fp_denorm_src 0
		.amdhsa_exception_fp_ieee_div_zero 0
		.amdhsa_exception_fp_ieee_overflow 0
		.amdhsa_exception_fp_ieee_underflow 0
		.amdhsa_exception_fp_ieee_inexact 0
		.amdhsa_exception_int_div_zero 0
	.end_amdhsa_kernel
	.text
.Lfunc_end0:
	.size	fft_rtc_fwd_len400_factors_4_10_10_wgs_120_tpt_40_halfLds_dp_op_CI_CI_unitstride_sbrr_dirReg, .Lfunc_end0-fft_rtc_fwd_len400_factors_4_10_10_wgs_120_tpt_40_halfLds_dp_op_CI_CI_unitstride_sbrr_dirReg
                                        ; -- End function
	.section	.AMDGPU.csdata,"",@progbits
; Kernel info:
; codeLenInByte = 6092
; NumSgprs: 29
; NumVgprs: 92
; ScratchSize: 0
; MemoryBound: 1
; FloatMode: 240
; IeeeMode: 1
; LDSByteSize: 0 bytes/workgroup (compile time only)
; SGPRBlocks: 3
; VGPRBlocks: 11
; NumSGPRsForWavesPerEU: 29
; NumVGPRsForWavesPerEU: 92
; Occupancy: 10
; WaveLimiterHint : 1
; COMPUTE_PGM_RSRC2:SCRATCH_EN: 0
; COMPUTE_PGM_RSRC2:USER_SGPR: 6
; COMPUTE_PGM_RSRC2:TRAP_HANDLER: 0
; COMPUTE_PGM_RSRC2:TGID_X_EN: 1
; COMPUTE_PGM_RSRC2:TGID_Y_EN: 0
; COMPUTE_PGM_RSRC2:TGID_Z_EN: 0
; COMPUTE_PGM_RSRC2:TIDIG_COMP_CNT: 0
	.text
	.p2alignl 6, 3214868480
	.fill 48, 4, 3214868480
	.type	__hip_cuid_1698211224403fb3,@object ; @__hip_cuid_1698211224403fb3
	.section	.bss,"aw",@nobits
	.globl	__hip_cuid_1698211224403fb3
__hip_cuid_1698211224403fb3:
	.byte	0                               ; 0x0
	.size	__hip_cuid_1698211224403fb3, 1

	.ident	"AMD clang version 19.0.0git (https://github.com/RadeonOpenCompute/llvm-project roc-6.4.0 25133 c7fe45cf4b819c5991fe208aaa96edf142730f1d)"
	.section	".note.GNU-stack","",@progbits
	.addrsig
	.addrsig_sym __hip_cuid_1698211224403fb3
	.amdgpu_metadata
---
amdhsa.kernels:
  - .args:
      - .actual_access:  read_only
        .address_space:  global
        .offset:         0
        .size:           8
        .value_kind:     global_buffer
      - .offset:         8
        .size:           8
        .value_kind:     by_value
      - .actual_access:  read_only
        .address_space:  global
        .offset:         16
        .size:           8
        .value_kind:     global_buffer
      - .actual_access:  read_only
        .address_space:  global
        .offset:         24
        .size:           8
        .value_kind:     global_buffer
      - .actual_access:  read_only
        .address_space:  global
        .offset:         32
        .size:           8
        .value_kind:     global_buffer
      - .offset:         40
        .size:           8
        .value_kind:     by_value
      - .actual_access:  read_only
        .address_space:  global
        .offset:         48
        .size:           8
        .value_kind:     global_buffer
      - .actual_access:  read_only
        .address_space:  global
        .offset:         56
        .size:           8
        .value_kind:     global_buffer
      - .offset:         64
        .size:           4
        .value_kind:     by_value
      - .actual_access:  read_only
        .address_space:  global
        .offset:         72
        .size:           8
        .value_kind:     global_buffer
      - .actual_access:  read_only
        .address_space:  global
        .offset:         80
        .size:           8
        .value_kind:     global_buffer
      - .actual_access:  read_only
        .address_space:  global
        .offset:         88
        .size:           8
        .value_kind:     global_buffer
      - .actual_access:  write_only
        .address_space:  global
        .offset:         96
        .size:           8
        .value_kind:     global_buffer
    .group_segment_fixed_size: 0
    .kernarg_segment_align: 8
    .kernarg_segment_size: 104
    .language:       OpenCL C
    .language_version:
      - 2
      - 0
    .max_flat_workgroup_size: 120
    .name:           fft_rtc_fwd_len400_factors_4_10_10_wgs_120_tpt_40_halfLds_dp_op_CI_CI_unitstride_sbrr_dirReg
    .private_segment_fixed_size: 0
    .sgpr_count:     29
    .sgpr_spill_count: 0
    .symbol:         fft_rtc_fwd_len400_factors_4_10_10_wgs_120_tpt_40_halfLds_dp_op_CI_CI_unitstride_sbrr_dirReg.kd
    .uniform_work_group_size: 1
    .uses_dynamic_stack: false
    .vgpr_count:     92
    .vgpr_spill_count: 0
    .wavefront_size: 32
    .workgroup_processor_mode: 1
amdhsa.target:   amdgcn-amd-amdhsa--gfx1030
amdhsa.version:
  - 1
  - 2
...

	.end_amdgpu_metadata
